;; amdgpu-corpus repo=zjin-lcf/HeCBench kind=compiled arch=gfx1030 opt=O3
	.amdgcn_target "amdgcn-amd-amdhsa--gfx1030"
	.amdhsa_code_object_version 6
	.text
	.protected	_Z12vanGenuchtenPKdS0_PdS1_S1_i ; -- Begin function _Z12vanGenuchtenPKdS0_PdS1_S1_i
	.globl	_Z12vanGenuchtenPKdS0_PdS1_S1_i
	.p2align	8
	.type	_Z12vanGenuchtenPKdS0_PdS1_S1_i,@function
_Z12vanGenuchtenPKdS0_PdS1_S1_i:        ; @_Z12vanGenuchtenPKdS0_PdS1_S1_i
; %bb.0:
	s_clause 0x1
	s_load_dword s0, s[4:5], 0x3c
	s_load_dword s1, s[4:5], 0x28
	s_waitcnt lgkmcnt(0)
	s_and_b32 s0, s0, 0xffff
	v_mad_u64_u32 v[0:1], null, s6, s0, v[0:1]
	s_mov_b32 s0, exec_lo
	v_cmpx_gt_i32_e64 s1, v0
	s_cbranch_execz .LBB0_6
; %bb.1:
	s_load_dwordx8 s[8:15], s[4:5], 0x0
	v_ashrrev_i32_e32 v1, 31, v0
	s_load_dwordx2 s[4:5], s[4:5], 0x20
	v_mov_b32_e32 v4, 0xcccccccd
	v_mov_b32_e32 v5, 0x3fdccccc
	v_lshlrev_b64 v[0:1], 3, v[0:1]
	s_waitcnt lgkmcnt(0)
	v_add_co_u32 v2, vcc_lo, s10, v0
	v_add_co_ci_u32_e64 v3, null, s11, v1, vcc_lo
	global_load_dwordx2 v[2:3], v[2:3], off
	s_waitcnt vmcnt(0)
	v_mul_f64 v[2:3], 0x40590000, v[2:3]
	v_cmp_gt_f64_e64 s0, 0, v[2:3]
	s_and_saveexec_b32 s33, s0
	s_cbranch_execz .LBB0_3
; %bb.2:
	s_mov_b32 s2, 0x47ae147b
	s_mov_b32 s3, 0xbf947ae1
	;; [unrolled: 1-line block ×3, first 2 shown]
	v_mul_f64 v[4:5], v[2:3], s[2:3]
	s_mov_b32 s7, 0x3fe55555
	s_mov_b32 s10, 0x968915a9
	;; [unrolled: 1-line block ×21, first 2 shown]
	v_frexp_mant_f64_e32 v[6:7], v[4:5]
	s_mov_b32 s36, 0xd5df274d
	s_mov_b32 s37, 0x3c8543b0
	;; [unrolled: 1-line block ×21, first 2 shown]
	v_cmp_gt_f64_e32 vcc_lo, s[6:7], v[6:7]
	s_mov_b32 s57, 0x3f2a01a0
	s_mov_b32 s58, 0x1852b7b0
	;; [unrolled: 1-line block ×11, first 2 shown]
	v_cndmask_b32_e64 v8, 0, 1, vcc_lo
	v_ldexp_f64 v[6:7], v[6:7], v8
	v_add_f64 v[8:9], v[6:7], 1.0
	v_add_f64 v[14:15], v[6:7], -1.0
	v_rcp_f64_e32 v[10:11], v[8:9]
	v_add_f64 v[16:17], v[8:9], -1.0
	v_add_f64 v[6:7], v[6:7], -v[16:17]
	v_fma_f64 v[12:13], -v[8:9], v[10:11], 1.0
	v_fma_f64 v[10:11], v[12:13], v[10:11], v[10:11]
	v_fma_f64 v[12:13], -v[8:9], v[10:11], 1.0
	v_fma_f64 v[10:11], v[12:13], v[10:11], v[10:11]
	v_mul_f64 v[12:13], v[14:15], v[10:11]
	v_mul_f64 v[18:19], v[8:9], v[12:13]
	v_fma_f64 v[8:9], v[12:13], v[8:9], -v[18:19]
	v_fma_f64 v[6:7], v[12:13], v[6:7], v[8:9]
	v_add_f64 v[8:9], v[18:19], v[6:7]
	v_add_f64 v[16:17], v[14:15], -v[8:9]
	v_add_f64 v[18:19], v[8:9], -v[18:19]
	;; [unrolled: 1-line block ×5, first 2 shown]
	v_add_f64 v[6:7], v[6:7], v[8:9]
	v_add_f64 v[6:7], v[16:17], v[6:7]
	v_mul_f64 v[6:7], v[10:11], v[6:7]
	v_add_f64 v[8:9], v[12:13], v[6:7]
	v_add_f64 v[10:11], v[8:9], -v[12:13]
	v_mul_f64 v[12:13], v[8:9], v[8:9]
	v_add_f64 v[6:7], v[6:7], -v[10:11]
	v_fma_f64 v[10:11], v[8:9], v[8:9], -v[12:13]
	v_add_f64 v[14:15], v[6:7], v[6:7]
	v_fma_f64 v[10:11], v[8:9], v[14:15], v[10:11]
	v_add_f64 v[14:15], v[12:13], v[10:11]
	v_fma_f64 v[16:17], v[14:15], s[16:17], s[10:11]
	v_add_f64 v[12:13], v[14:15], -v[12:13]
	v_mul_f64 v[22:23], v[8:9], v[14:15]
	v_fma_f64 v[16:17], v[14:15], v[16:17], s[18:19]
	v_add_f64 v[10:11], v[10:11], -v[12:13]
	v_fma_f64 v[16:17], v[14:15], v[16:17], s[20:21]
	v_fma_f64 v[16:17], v[14:15], v[16:17], s[22:23]
	;; [unrolled: 1-line block ×6, first 2 shown]
	v_mul_f64 v[18:19], v[14:15], v[16:17]
	v_fma_f64 v[12:13], v[14:15], v[16:17], -v[18:19]
	v_fma_f64 v[12:13], v[10:11], v[16:17], v[12:13]
	v_add_f64 v[16:17], v[18:19], v[12:13]
	v_add_f64 v[20:21], v[16:17], s[6:7]
	v_add_f64 v[18:19], v[16:17], -v[18:19]
	v_add_f64 v[24:25], v[20:21], s[34:35]
	v_add_f64 v[12:13], v[12:13], -v[18:19]
	v_fma_f64 v[18:19], v[14:15], v[8:9], -v[22:23]
	v_add_f64 v[16:17], v[16:17], -v[24:25]
	v_add_f64 v[12:13], v[12:13], s[36:37]
	v_fma_f64 v[14:15], v[14:15], v[6:7], v[18:19]
	v_ldexp_f64 v[6:7], v[6:7], 1
	v_add_f64 v[12:13], v[12:13], v[16:17]
	v_fma_f64 v[10:11], v[10:11], v[8:9], v[14:15]
	v_ldexp_f64 v[8:9], v[8:9], 1
	v_add_f64 v[14:15], v[20:21], v[12:13]
	v_add_f64 v[16:17], v[22:23], v[10:11]
	v_add_f64 v[18:19], v[20:21], -v[14:15]
	v_mul_f64 v[20:21], v[16:17], v[14:15]
	v_add_f64 v[22:23], v[16:17], -v[22:23]
	v_add_f64 v[12:13], v[12:13], v[18:19]
	v_fma_f64 v[18:19], v[16:17], v[14:15], -v[20:21]
	v_add_f64 v[10:11], v[10:11], -v[22:23]
	v_fma_f64 v[12:13], v[16:17], v[12:13], v[18:19]
	v_fma_f64 v[10:11], v[10:11], v[14:15], v[12:13]
	v_frexp_exp_i32_f64_e32 v14, v[4:5]
	v_add_f64 v[12:13], v[20:21], v[10:11]
	v_subrev_co_ci_u32_e64 v14, null, 0, v14, vcc_lo
	v_cmp_eq_f64_e32 vcc_lo, 1.0, v[4:5]
	v_cvt_f64_i32_e32 v[14:15], v14
	v_add_f64 v[16:17], v[8:9], v[12:13]
	v_add_f64 v[18:19], v[12:13], -v[20:21]
	v_mul_f64 v[20:21], v[14:15], s[38:39]
	v_add_f64 v[8:9], v[16:17], -v[8:9]
	v_add_f64 v[10:11], v[10:11], -v[18:19]
	v_fma_f64 v[18:19], v[14:15], s[38:39], -v[20:21]
	v_add_f64 v[8:9], v[12:13], -v[8:9]
	v_add_f64 v[6:7], v[6:7], v[10:11]
	v_fma_f64 v[10:11], v[14:15], s[42:43], v[18:19]
	v_add_f64 v[6:7], v[6:7], v[8:9]
	v_add_f64 v[8:9], v[20:21], v[10:11]
	;; [unrolled: 1-line block ×3, first 2 shown]
	v_add_f64 v[20:21], v[8:9], -v[20:21]
	v_add_f64 v[14:15], v[8:9], v[12:13]
	v_add_f64 v[16:17], v[12:13], -v[16:17]
	v_add_f64 v[10:11], v[10:11], -v[20:21]
	;; [unrolled: 1-line block ×6, first 2 shown]
	v_add_f64 v[16:17], v[10:11], v[6:7]
	v_add_f64 v[8:9], v[8:9], -v[22:23]
	v_add_f64 v[8:9], v[12:13], v[8:9]
	v_add_f64 v[12:13], v[16:17], -v[10:11]
	v_add_f64 v[8:9], v[16:17], v[8:9]
	v_add_f64 v[16:17], v[16:17], -v[12:13]
	v_add_f64 v[6:7], v[6:7], -v[12:13]
	v_add_f64 v[18:19], v[14:15], v[8:9]
	v_add_f64 v[10:11], v[10:11], -v[16:17]
	v_add_f64 v[12:13], v[18:19], -v[14:15]
	v_add_f64 v[6:7], v[6:7], v[10:11]
	v_cndmask_b32_e64 v11, 0xcccccccd, 0, vcc_lo
	v_add_f64 v[8:9], v[8:9], -v[12:13]
	v_add_f64 v[7:8], v[6:7], v[8:9]
	v_mov_b32_e32 v6, 0x3ff00000
	v_cndmask_b32_e32 v12, 0x3ffccccc, v6, vcc_lo
	v_add_f64 v[9:10], v[18:19], v[7:8]
	v_add_f64 v[13:14], v[9:10], -v[18:19]
	v_mul_f64 v[15:16], v[11:12], v[9:10]
	v_add_f64 v[7:8], v[7:8], -v[13:14]
	v_fma_f64 v[9:10], v[11:12], v[9:10], -v[15:16]
	v_cmp_class_f64_e64 vcc_lo, v[15:16], 0x204
	v_fma_f64 v[7:8], v[11:12], v[7:8], v[9:10]
	v_add_f64 v[9:10], v[15:16], v[7:8]
	v_cndmask_b32_e32 v12, v10, v16, vcc_lo
	v_cndmask_b32_e32 v11, v9, v15, vcc_lo
	v_add_f64 v[9:10], v[9:10], -v[15:16]
	v_mul_f64 v[13:14], v[11:12], s[40:41]
	v_cmp_nlt_f64_e64 s1, 0x40900000, v[11:12]
	v_cmp_neq_f64_e64 vcc_lo, 0x7ff00000, |v[11:12]|
	v_cmp_ngt_f64_e64 s2, 0xc090cc00, v[11:12]
	v_add_f64 v[7:8], v[7:8], -v[9:10]
	v_rndne_f64_e32 v[13:14], v[13:14]
	v_cndmask_b32_e32 v8, 0, v8, vcc_lo
	v_cndmask_b32_e32 v7, 0, v7, vcc_lo
	s_and_b32 vcc_lo, s2, s1
	v_fma_f64 v[17:18], v[13:14], s[44:45], v[11:12]
	v_cvt_i32_f64_e32 v21, v[13:14]
	v_fma_f64 v[17:18], v[13:14], s[46:47], v[17:18]
	v_fma_f64 v[19:20], v[17:18], s[50:51], s[48:49]
	;; [unrolled: 1-line block ×10, first 2 shown]
	v_fma_f64 v[19:20], v[17:18], v[19:20], 1.0
	v_fma_f64 v[13:14], v[17:18], v[19:20], 1.0
	v_ldexp_f64 v[13:14], v[13:14], v21
	v_cndmask_b32_e64 v9, 0x7ff00000, v14, s1
	v_cmp_neq_f64_e64 s1, 0, v[4:5]
	v_cndmask_b32_e64 v10, 0, v9, s2
	v_cndmask_b32_e32 v9, 0, v13, vcc_lo
	v_fma_f64 v[7:8], v[9:10], v[7:8], v[9:10]
	v_cmp_class_f64_e64 vcc_lo, v[9:10], 0x204
	v_cndmask_b32_e32 v8, v8, v10, vcc_lo
	v_cndmask_b32_e32 v7, v7, v9, vcc_lo
	v_cmp_neq_f64_e32 vcc_lo, 0x7ff00000, v[4:5]
	v_add_f64 v[7:8], |v[7:8]|, 1.0
	v_cndmask_b32_e32 v8, 0x7ff00000, v8, vcc_lo
	s_and_b32 vcc_lo, s1, vcc_lo
	v_cndmask_b32_e32 v4, 0, v7, vcc_lo
	v_cndmask_b32_e64 v5, 0x3ff00000, v8, s1
	v_frexp_mant_f64_e64 v[7:8], |v[4:5]|
	v_cmp_eq_f64_e64 s3, 0, v[4:5]
	v_cmp_gt_f64_e32 vcc_lo, s[6:7], v[7:8]
	v_cndmask_b32_e64 v9, 0, 1, vcc_lo
	v_ldexp_f64 v[7:8], v[7:8], v9
	v_add_f64 v[9:10], v[7:8], 1.0
	v_add_f64 v[15:16], v[7:8], -1.0
	v_rcp_f64_e32 v[11:12], v[9:10]
	v_add_f64 v[17:18], v[9:10], -1.0
	v_add_f64 v[7:8], v[7:8], -v[17:18]
	v_fma_f64 v[13:14], -v[9:10], v[11:12], 1.0
	v_fma_f64 v[11:12], v[13:14], v[11:12], v[11:12]
	v_fma_f64 v[13:14], -v[9:10], v[11:12], 1.0
	v_fma_f64 v[11:12], v[13:14], v[11:12], v[11:12]
	v_mul_f64 v[13:14], v[15:16], v[11:12]
	v_mul_f64 v[19:20], v[9:10], v[13:14]
	v_fma_f64 v[9:10], v[13:14], v[9:10], -v[19:20]
	v_fma_f64 v[7:8], v[13:14], v[7:8], v[9:10]
	v_add_f64 v[9:10], v[19:20], v[7:8]
	v_add_f64 v[17:18], v[15:16], -v[9:10]
	v_add_f64 v[19:20], v[9:10], -v[19:20]
	;; [unrolled: 1-line block ×5, first 2 shown]
	v_add_f64 v[7:8], v[7:8], v[9:10]
	v_add_f64 v[7:8], v[17:18], v[7:8]
	v_mul_f64 v[7:8], v[11:12], v[7:8]
	v_add_f64 v[9:10], v[13:14], v[7:8]
	v_add_f64 v[11:12], v[9:10], -v[13:14]
	v_mul_f64 v[13:14], v[9:10], v[9:10]
	v_add_f64 v[7:8], v[7:8], -v[11:12]
	v_fma_f64 v[11:12], v[9:10], v[9:10], -v[13:14]
	v_add_f64 v[15:16], v[7:8], v[7:8]
	v_fma_f64 v[11:12], v[9:10], v[15:16], v[11:12]
	v_add_f64 v[15:16], v[13:14], v[11:12]
	v_fma_f64 v[17:18], v[15:16], s[16:17], s[10:11]
	v_add_f64 v[13:14], v[15:16], -v[13:14]
	v_mul_f64 v[23:24], v[9:10], v[15:16]
	v_fma_f64 v[17:18], v[15:16], v[17:18], s[18:19]
	v_add_f64 v[11:12], v[11:12], -v[13:14]
	v_fma_f64 v[17:18], v[15:16], v[17:18], s[20:21]
	v_fma_f64 v[17:18], v[15:16], v[17:18], s[22:23]
	;; [unrolled: 1-line block ×6, first 2 shown]
	v_mul_f64 v[19:20], v[15:16], v[17:18]
	v_fma_f64 v[13:14], v[15:16], v[17:18], -v[19:20]
	v_fma_f64 v[13:14], v[11:12], v[17:18], v[13:14]
	v_add_f64 v[17:18], v[19:20], v[13:14]
	v_add_f64 v[21:22], v[17:18], s[6:7]
	v_add_f64 v[19:20], v[17:18], -v[19:20]
	v_cmp_class_f64_e64 s6, v[4:5], 0x204
	v_add_f64 v[25:26], v[21:22], s[34:35]
	v_add_f64 v[13:14], v[13:14], -v[19:20]
	v_fma_f64 v[19:20], v[15:16], v[9:10], -v[23:24]
	v_add_f64 v[17:18], v[17:18], -v[25:26]
	v_add_f64 v[13:14], v[13:14], s[36:37]
	v_fma_f64 v[15:16], v[15:16], v[7:8], v[19:20]
	v_ldexp_f64 v[7:8], v[7:8], 1
	v_add_f64 v[13:14], v[13:14], v[17:18]
	v_fma_f64 v[11:12], v[11:12], v[9:10], v[15:16]
	v_ldexp_f64 v[9:10], v[9:10], 1
	v_add_f64 v[15:16], v[21:22], v[13:14]
	v_add_f64 v[17:18], v[23:24], v[11:12]
	v_add_f64 v[19:20], v[21:22], -v[15:16]
	v_mul_f64 v[21:22], v[17:18], v[15:16]
	v_add_f64 v[23:24], v[17:18], -v[23:24]
	v_add_f64 v[13:14], v[13:14], v[19:20]
	v_fma_f64 v[19:20], v[17:18], v[15:16], -v[21:22]
	v_add_f64 v[11:12], v[11:12], -v[23:24]
	v_fma_f64 v[13:14], v[17:18], v[13:14], v[19:20]
	v_fma_f64 v[11:12], v[11:12], v[15:16], v[13:14]
	v_frexp_exp_i32_f64_e32 v15, v[4:5]
	v_add_f64 v[13:14], v[21:22], v[11:12]
	v_subrev_co_ci_u32_e64 v15, null, 0, v15, vcc_lo
	v_cmp_eq_f64_e32 vcc_lo, 1.0, v[4:5]
	v_cvt_f64_i32_e32 v[15:16], v15
	v_add_f64 v[17:18], v[9:10], v[13:14]
	v_add_f64 v[19:20], v[13:14], -v[21:22]
	v_mul_f64 v[21:22], v[15:16], s[38:39]
	v_add_f64 v[9:10], v[17:18], -v[9:10]
	v_add_f64 v[11:12], v[11:12], -v[19:20]
	v_fma_f64 v[19:20], v[15:16], s[38:39], -v[21:22]
	v_add_f64 v[9:10], v[13:14], -v[9:10]
	v_add_f64 v[7:8], v[7:8], v[11:12]
	v_fma_f64 v[11:12], v[15:16], s[42:43], v[19:20]
	v_add_f64 v[7:8], v[7:8], v[9:10]
	v_add_f64 v[9:10], v[21:22], v[11:12]
	;; [unrolled: 1-line block ×3, first 2 shown]
	v_add_f64 v[21:22], v[9:10], -v[21:22]
	v_add_f64 v[15:16], v[9:10], v[13:14]
	v_add_f64 v[17:18], v[13:14], -v[17:18]
	v_add_f64 v[11:12], v[11:12], -v[21:22]
	;; [unrolled: 1-line block ×6, first 2 shown]
	v_add_f64 v[17:18], v[11:12], v[7:8]
	v_add_f64 v[9:10], v[9:10], -v[23:24]
	v_add_f64 v[9:10], v[13:14], v[9:10]
	v_add_f64 v[13:14], v[17:18], -v[11:12]
	;; [unrolled: 2-line block ×3, first 2 shown]
	v_add_f64 v[7:8], v[7:8], -v[13:14]
	v_add_f64 v[19:20], v[15:16], v[9:10]
	v_add_f64 v[11:12], v[11:12], -v[17:18]
	v_add_f64 v[13:14], v[19:20], -v[15:16]
	v_add_f64 v[7:8], v[7:8], v[11:12]
	v_cndmask_b32_e32 v12, 0x3fdc71c7, v6, vcc_lo
	v_cndmask_b32_e64 v11, 0x1c71c71d, 0, vcc_lo
	v_add_f64 v[9:10], v[9:10], -v[13:14]
	v_add_f64 v[7:8], v[7:8], v[9:10]
	v_add_f64 v[9:10], v[19:20], v[7:8]
	v_add_f64 v[13:14], v[9:10], -v[19:20]
	v_mul_f64 v[15:16], v[11:12], v[9:10]
	v_add_f64 v[6:7], v[7:8], -v[13:14]
	v_fma_f64 v[8:9], v[11:12], v[9:10], -v[15:16]
	v_cmp_class_f64_e64 vcc_lo, v[15:16], 0x204
	v_fma_f64 v[6:7], v[11:12], v[6:7], v[8:9]
	v_add_f64 v[8:9], v[15:16], v[6:7]
	v_cndmask_b32_e32 v14, v9, v16, vcc_lo
	v_cndmask_b32_e32 v13, v8, v15, vcc_lo
	v_add_f64 v[8:9], v[8:9], -v[15:16]
	v_mul_f64 v[17:18], v[13:14], s[40:41]
	v_cmp_nlt_f64_e64 s1, 0x40900000, v[13:14]
	v_cmp_neq_f64_e64 vcc_lo, 0x7ff00000, |v[13:14]|
	v_cmp_ngt_f64_e64 s2, 0xc090cc00, v[13:14]
	v_add_f64 v[6:7], v[6:7], -v[8:9]
	v_trunc_f64_e32 v[8:9], v[11:12]
	v_rndne_f64_e32 v[17:18], v[17:18]
	v_cndmask_b32_e32 v7, 0, v7, vcc_lo
	v_cndmask_b32_e32 v6, 0, v6, vcc_lo
	s_and_b32 vcc_lo, s2, s1
	v_fma_f64 v[19:20], v[17:18], s[44:45], v[13:14]
	v_cvt_i32_f64_e32 v10, v[17:18]
	v_fma_f64 v[19:20], v[17:18], s[46:47], v[19:20]
	v_fma_f64 v[21:22], v[19:20], s[50:51], s[48:49]
	;; [unrolled: 1-line block ×10, first 2 shown]
	v_fma_f64 v[21:22], v[19:20], v[21:22], 1.0
	v_fma_f64 v[17:18], v[19:20], v[21:22], 1.0
	v_ldexp_f64 v[15:16], v[17:18], v10
	v_mul_f64 v[17:18], v[11:12], 0.5
	v_cndmask_b32_e64 v10, 0x7ff00000, v16, s1
	v_trunc_f64_e32 v[13:14], v[17:18]
	v_cndmask_b32_e32 v15, 0, v15, vcc_lo
	v_cmp_eq_f64_e32 vcc_lo, v[8:9], v[11:12]
	v_cndmask_b32_e64 v8, 0x7ff00000, 0, s3
	v_cndmask_b32_e64 v16, 0, v10, s2
	v_fma_f64 v[6:7], v[15:16], v[6:7], v[15:16]
	v_cmp_class_f64_e64 s2, v[15:16], 0x204
	v_cmp_neq_f64_e64 s1, v[13:14], v[17:18]
	v_cndmask_b32_e64 v7, v7, v16, s2
	v_cndmask_b32_e64 v6, v6, v15, s2
	s_and_b32 vcc_lo, vcc_lo, s1
	v_cndmask_b32_e32 v9, 0x3ff00000, v5, vcc_lo
	v_cndmask_b32_e32 v10, 0, v5, vcc_lo
	s_or_b32 vcc_lo, s3, s6
	s_mov_b32 s2, 0x66666666
	v_cndmask_b32_e64 v6, v6, 0, vcc_lo
	v_bfi_b32 v7, 0x7fffffff, v7, v9
	v_bfi_b32 v8, 0x7fffffff, v8, v10
	s_mov_b32 s3, 0x3fd66666
	v_cndmask_b32_e32 v7, v7, v8, vcc_lo
	v_div_scale_f64 v[8:9], null, v[6:7], v[6:7], s[2:3]
	v_div_scale_f64 v[14:15], vcc_lo, s[2:3], v[6:7], s[2:3]
	v_rcp_f64_e32 v[10:11], v[8:9]
	v_fma_f64 v[12:13], -v[8:9], v[10:11], 1.0
	v_fma_f64 v[10:11], v[10:11], v[12:13], v[10:11]
	v_fma_f64 v[12:13], -v[8:9], v[10:11], 1.0
	v_fma_f64 v[10:11], v[10:11], v[12:13], v[10:11]
	v_mul_f64 v[12:13], v[14:15], v[10:11]
	v_fma_f64 v[8:9], -v[8:9], v[12:13], v[14:15]
	v_div_fmas_f64 v[8:9], v[8:9], v[10:11], v[12:13]
	v_cmp_o_f64_e32 vcc_lo, v[4:5], v[4:5]
	v_div_fixup_f64 v[6:7], v[8:9], v[6:7], s[2:3]
	s_mov_b32 s2, 0x9999999a
	s_mov_b32 s3, 0x3fb99999
	v_add_f64 v[6:7], v[6:7], s[2:3]
	v_cndmask_b32_e32 v5, 0x7ff80000, v7, vcc_lo
	v_cndmask_b32_e32 v4, 0, v6, vcc_lo
.LBB0_3:
	s_or_b32 exec_lo, exec_lo, s33
	s_mov_b32 s2, 0x9999999a
	s_mov_b32 s3, 0xbfb99999
	;; [unrolled: 1-line block ×3, first 2 shown]
	v_add_f64 v[6:7], v[4:5], s[2:3]
	s_mov_b32 s6, 0x66666666
	s_mov_b32 s10, 0x55555555
	;; [unrolled: 1-line block ×21, first 2 shown]
	v_div_scale_f64 v[8:9], null, s[6:7], s[6:7], v[6:7]
	v_div_scale_f64 v[14:15], vcc_lo, v[6:7], s[6:7], v[6:7]
	s_mov_b32 s37, 0xbfe55555
	s_mov_b32 s36, s10
	;; [unrolled: 1-line block ×18, first 2 shown]
	v_rcp_f64_e32 v[10:11], v[8:9]
	s_mov_b32 s54, 0x623fde64
	s_mov_b32 s55, 0x3ec71dee
	;; [unrolled: 1-line block ×16, first 2 shown]
	v_fma_f64 v[12:13], -v[8:9], v[10:11], 1.0
	v_fma_f64 v[10:11], v[10:11], v[12:13], v[10:11]
	v_fma_f64 v[12:13], -v[8:9], v[10:11], 1.0
	v_fma_f64 v[10:11], v[10:11], v[12:13], v[10:11]
	v_mul_f64 v[12:13], v[14:15], v[10:11]
	v_fma_f64 v[8:9], -v[8:9], v[12:13], v[14:15]
	v_div_fmas_f64 v[8:9], v[8:9], v[10:11], v[12:13]
	v_div_fixup_f64 v[6:7], v[8:9], s[6:7], v[6:7]
	v_frexp_mant_f64_e64 v[8:9], |v[6:7]|
	v_cmp_class_f64_e64 s3, v[6:7], 0x204
	v_cmp_gt_f64_e32 vcc_lo, s[10:11], v[8:9]
	v_cndmask_b32_e64 v10, 0, 1, vcc_lo
	v_ldexp_f64 v[8:9], v[8:9], v10
	v_add_f64 v[10:11], v[8:9], 1.0
	v_add_f64 v[16:17], v[8:9], -1.0
	v_rcp_f64_e32 v[12:13], v[10:11]
	v_add_f64 v[18:19], v[10:11], -1.0
	v_add_f64 v[8:9], v[8:9], -v[18:19]
	v_fma_f64 v[14:15], -v[10:11], v[12:13], 1.0
	v_fma_f64 v[12:13], v[14:15], v[12:13], v[12:13]
	v_fma_f64 v[14:15], -v[10:11], v[12:13], 1.0
	v_fma_f64 v[12:13], v[14:15], v[12:13], v[12:13]
	v_mul_f64 v[14:15], v[16:17], v[12:13]
	v_mul_f64 v[20:21], v[10:11], v[14:15]
	v_fma_f64 v[10:11], v[14:15], v[10:11], -v[20:21]
	v_fma_f64 v[8:9], v[14:15], v[8:9], v[10:11]
	v_add_f64 v[10:11], v[20:21], v[8:9]
	v_add_f64 v[18:19], v[16:17], -v[10:11]
	v_add_f64 v[20:21], v[10:11], -v[20:21]
	;; [unrolled: 1-line block ×5, first 2 shown]
	v_add_f64 v[8:9], v[8:9], v[10:11]
	v_add_f64 v[8:9], v[18:19], v[8:9]
	v_mul_f64 v[8:9], v[12:13], v[8:9]
	v_add_f64 v[10:11], v[14:15], v[8:9]
	v_add_f64 v[12:13], v[10:11], -v[14:15]
	v_mul_f64 v[14:15], v[10:11], v[10:11]
	v_add_f64 v[8:9], v[8:9], -v[12:13]
	v_fma_f64 v[12:13], v[10:11], v[10:11], -v[14:15]
	v_add_f64 v[16:17], v[8:9], v[8:9]
	v_fma_f64 v[12:13], v[10:11], v[16:17], v[12:13]
	v_add_f64 v[16:17], v[14:15], v[12:13]
	v_fma_f64 v[18:19], v[16:17], s[18:19], s[16:17]
	v_add_f64 v[14:15], v[16:17], -v[14:15]
	v_mul_f64 v[24:25], v[10:11], v[16:17]
	v_fma_f64 v[18:19], v[16:17], v[18:19], s[20:21]
	v_add_f64 v[12:13], v[12:13], -v[14:15]
	v_fma_f64 v[18:19], v[16:17], v[18:19], s[22:23]
	v_fma_f64 v[18:19], v[16:17], v[18:19], s[24:25]
	;; [unrolled: 1-line block ×6, first 2 shown]
	v_mul_f64 v[20:21], v[16:17], v[18:19]
	v_fma_f64 v[14:15], v[16:17], v[18:19], -v[20:21]
	v_fma_f64 v[14:15], v[12:13], v[18:19], v[14:15]
	v_add_f64 v[18:19], v[20:21], v[14:15]
	v_add_f64 v[22:23], v[18:19], s[10:11]
	v_add_f64 v[20:21], v[18:19], -v[20:21]
	v_add_f64 v[26:27], v[22:23], s[36:37]
	v_add_f64 v[14:15], v[14:15], -v[20:21]
	v_fma_f64 v[20:21], v[16:17], v[10:11], -v[24:25]
	v_add_f64 v[18:19], v[18:19], -v[26:27]
	v_add_f64 v[14:15], v[14:15], s[38:39]
	v_fma_f64 v[16:17], v[16:17], v[8:9], v[20:21]
	v_ldexp_f64 v[8:9], v[8:9], 1
	v_add_f64 v[14:15], v[14:15], v[18:19]
	v_fma_f64 v[12:13], v[12:13], v[10:11], v[16:17]
	v_ldexp_f64 v[10:11], v[10:11], 1
	v_add_f64 v[16:17], v[22:23], v[14:15]
	v_add_f64 v[18:19], v[24:25], v[12:13]
	v_add_f64 v[20:21], v[22:23], -v[16:17]
	v_mul_f64 v[22:23], v[18:19], v[16:17]
	v_add_f64 v[24:25], v[18:19], -v[24:25]
	v_add_f64 v[14:15], v[14:15], v[20:21]
	v_fma_f64 v[20:21], v[18:19], v[16:17], -v[22:23]
	v_add_f64 v[12:13], v[12:13], -v[24:25]
	v_fma_f64 v[14:15], v[18:19], v[14:15], v[20:21]
	v_fma_f64 v[12:13], v[12:13], v[16:17], v[14:15]
	v_frexp_exp_i32_f64_e32 v16, v[6:7]
	v_add_f64 v[14:15], v[22:23], v[12:13]
	v_subrev_co_ci_u32_e64 v16, null, 0, v16, vcc_lo
	v_cmp_eq_f64_e32 vcc_lo, 1.0, v[6:7]
	v_cvt_f64_i32_e32 v[16:17], v16
	v_add_f64 v[18:19], v[10:11], v[14:15]
	v_add_f64 v[20:21], v[14:15], -v[22:23]
	v_mul_f64 v[22:23], v[16:17], s[40:41]
	v_add_f64 v[10:11], v[18:19], -v[10:11]
	v_add_f64 v[12:13], v[12:13], -v[20:21]
	v_fma_f64 v[20:21], v[16:17], s[40:41], -v[22:23]
	v_add_f64 v[10:11], v[14:15], -v[10:11]
	v_add_f64 v[8:9], v[8:9], v[12:13]
	v_fma_f64 v[12:13], v[16:17], s[44:45], v[20:21]
	v_add_f64 v[8:9], v[8:9], v[10:11]
	v_add_f64 v[10:11], v[22:23], v[12:13]
	;; [unrolled: 1-line block ×3, first 2 shown]
	v_add_f64 v[22:23], v[10:11], -v[22:23]
	v_add_f64 v[16:17], v[10:11], v[14:15]
	v_add_f64 v[18:19], v[14:15], -v[18:19]
	v_add_f64 v[12:13], v[12:13], -v[22:23]
	v_add_f64 v[20:21], v[16:17], -v[10:11]
	v_add_f64 v[8:9], v[8:9], -v[18:19]
	v_add_f64 v[24:25], v[16:17], -v[20:21]
	v_add_f64 v[14:15], v[14:15], -v[20:21]
	v_add_f64 v[18:19], v[12:13], v[8:9]
	v_add_f64 v[10:11], v[10:11], -v[24:25]
	v_add_f64 v[10:11], v[14:15], v[10:11]
	v_add_f64 v[14:15], v[18:19], -v[12:13]
	;; [unrolled: 2-line block ×3, first 2 shown]
	v_add_f64 v[8:9], v[8:9], -v[14:15]
	v_add_f64 v[20:21], v[16:17], v[10:11]
	v_add_f64 v[12:13], v[12:13], -v[18:19]
	v_add_f64 v[14:15], v[20:21], -v[16:17]
	v_add_f64 v[8:9], v[8:9], v[12:13]
	v_mov_b32_e32 v13, 0
	v_add_f64 v[10:11], v[10:11], -v[14:15]
	v_add_f64 v[8:9], v[8:9], v[10:11]
	v_mov_b32_e32 v10, 0x3ff00000
	v_cndmask_b32_e32 v14, 0x40020000, v10, vcc_lo
	v_add_f64 v[11:12], v[20:21], v[8:9]
	v_add_f64 v[15:16], v[11:12], -v[20:21]
	v_mul_f64 v[17:18], v[13:14], v[11:12]
	v_add_f64 v[8:9], v[8:9], -v[15:16]
	v_fma_f64 v[11:12], v[13:14], v[11:12], -v[17:18]
	v_cmp_class_f64_e64 vcc_lo, v[17:18], 0x204
	v_fma_f64 v[8:9], v[13:14], v[8:9], v[11:12]
	v_add_f64 v[11:12], v[17:18], v[8:9]
	v_cndmask_b32_e32 v16, v12, v18, vcc_lo
	v_cndmask_b32_e32 v15, v11, v17, vcc_lo
	v_add_f64 v[11:12], v[11:12], -v[17:18]
	v_mul_f64 v[19:20], v[15:16], s[42:43]
	v_cmp_nlt_f64_e64 s1, 0x40900000, v[15:16]
	v_cmp_neq_f64_e64 vcc_lo, 0x7ff00000, |v[15:16]|
	v_cmp_ngt_f64_e64 s2, 0xc090cc00, v[15:16]
	v_add_f64 v[8:9], v[8:9], -v[11:12]
	v_mul_f64 v[11:12], v[13:14], 0.5
	v_rndne_f64_e32 v[19:20], v[19:20]
	v_cndmask_b32_e32 v9, 0, v9, vcc_lo
	v_cndmask_b32_e32 v8, 0, v8, vcc_lo
	s_and_b32 vcc_lo, s2, s1
	v_fma_f64 v[21:22], v[19:20], s[46:47], v[15:16]
	v_cvt_i32_f64_e32 v25, v[19:20]
	v_fma_f64 v[21:22], v[19:20], s[48:49], v[21:22]
	v_fma_f64 v[23:24], v[21:22], s[52:53], s[50:51]
	v_fma_f64 v[23:24], v[21:22], v[23:24], s[54:55]
	v_fma_f64 v[23:24], v[21:22], v[23:24], s[56:57]
	v_fma_f64 v[23:24], v[21:22], v[23:24], s[58:59]
	v_fma_f64 v[23:24], v[21:22], v[23:24], s[60:61]
	v_fma_f64 v[23:24], v[21:22], v[23:24], s[62:63]
	v_fma_f64 v[23:24], v[21:22], v[23:24], s[64:65]
	v_fma_f64 v[23:24], v[21:22], v[23:24], s[66:67]
	v_fma_f64 v[23:24], v[21:22], v[23:24], s[68:69]
	v_fma_f64 v[23:24], v[21:22], v[23:24], 1.0
	v_fma_f64 v[19:20], v[21:22], v[23:24], 1.0
	v_ldexp_f64 v[17:18], v[19:20], v25
	v_trunc_f64_e32 v[19:20], v[13:14]
	v_cndmask_b32_e64 v18, 0x7ff00000, v18, s1
	v_cndmask_b32_e32 v15, 0, v17, vcc_lo
	v_cndmask_b32_e64 v16, 0, v18, s2
	v_trunc_f64_e32 v[17:18], v[11:12]
	v_cmp_eq_f64_e64 s2, v[19:20], v[13:14]
	v_fma_f64 v[8:9], v[15:16], v[8:9], v[15:16]
	v_cmp_class_f64_e64 s1, v[15:16], 0x204
	v_cmp_neq_f64_e32 vcc_lo, v[17:18], v[11:12]
	v_cndmask_b32_e64 v9, v9, v16, s1
	v_cndmask_b32_e64 v8, v8, v15, s1
	v_cmp_gt_f64_e64 s1, 0, v[6:7]
	v_cndmask_b32_e64 v11, 0, v8, s2
	s_and_b32 vcc_lo, s2, vcc_lo
	v_cndmask_b32_e32 v12, 0x3ff00000, v7, vcc_lo
	v_cndmask_b32_e32 v14, 0, v7, vcc_lo
	v_bfi_b32 v9, 0x7fffffff, v9, v12
	v_cndmask_b32_e64 v8, v8, v11, s1
	v_cndmask_b32_e64 v12, 0x7ff80000, v9, s2
	v_cmp_eq_f64_e64 s2, 0, v[6:7]
	v_cndmask_b32_e64 v9, v9, v12, s1
	v_cndmask_b32_e64 v13, 0x7ff00000, 0, s2
	s_or_b32 vcc_lo, s2, s3
	v_cndmask_b32_e64 v8, v8, 0, vcc_lo
	v_bfi_b32 v11, 0x7fffffff, v13, v14
	v_cndmask_b32_e32 v9, v9, v11, vcc_lo
	v_cmp_o_f64_e32 vcc_lo, v[6:7], v[6:7]
	v_add_f64 v[8:9], -v[8:9], 1.0
	v_cndmask_b32_e32 v9, 0x7ff80000, v9, vcc_lo
	v_cndmask_b32_e32 v8, 0, v8, vcc_lo
	v_frexp_mant_f64_e64 v[11:12], |v[8:9]|
	v_cmp_class_f64_e64 s7, v[8:9], 0x204
	v_cmp_gt_f64_e32 vcc_lo, s[10:11], v[11:12]
	v_cndmask_b32_e64 v13, 0, 1, vcc_lo
	v_ldexp_f64 v[11:12], v[11:12], v13
	v_add_f64 v[13:14], v[11:12], 1.0
	v_add_f64 v[19:20], v[11:12], -1.0
	v_rcp_f64_e32 v[15:16], v[13:14]
	v_add_f64 v[21:22], v[13:14], -1.0
	v_add_f64 v[11:12], v[11:12], -v[21:22]
	v_fma_f64 v[17:18], -v[13:14], v[15:16], 1.0
	v_fma_f64 v[15:16], v[17:18], v[15:16], v[15:16]
	v_fma_f64 v[17:18], -v[13:14], v[15:16], 1.0
	v_fma_f64 v[15:16], v[17:18], v[15:16], v[15:16]
	v_mul_f64 v[17:18], v[19:20], v[15:16]
	v_mul_f64 v[23:24], v[13:14], v[17:18]
	v_fma_f64 v[13:14], v[17:18], v[13:14], -v[23:24]
	v_fma_f64 v[11:12], v[17:18], v[11:12], v[13:14]
	v_add_f64 v[13:14], v[23:24], v[11:12]
	v_add_f64 v[21:22], v[19:20], -v[13:14]
	v_add_f64 v[23:24], v[13:14], -v[23:24]
	;; [unrolled: 1-line block ×5, first 2 shown]
	v_add_f64 v[11:12], v[11:12], v[13:14]
	v_add_f64 v[11:12], v[21:22], v[11:12]
	v_mul_f64 v[11:12], v[15:16], v[11:12]
	v_add_f64 v[13:14], v[17:18], v[11:12]
	v_add_f64 v[15:16], v[13:14], -v[17:18]
	v_mul_f64 v[17:18], v[13:14], v[13:14]
	v_add_f64 v[11:12], v[11:12], -v[15:16]
	v_fma_f64 v[15:16], v[13:14], v[13:14], -v[17:18]
	v_add_f64 v[19:20], v[11:12], v[11:12]
	v_fma_f64 v[15:16], v[13:14], v[19:20], v[15:16]
	v_add_f64 v[19:20], v[17:18], v[15:16]
	v_fma_f64 v[21:22], v[19:20], s[18:19], s[16:17]
	v_add_f64 v[17:18], v[19:20], -v[17:18]
	v_mul_f64 v[27:28], v[13:14], v[19:20]
	v_fma_f64 v[21:22], v[19:20], v[21:22], s[20:21]
	v_add_f64 v[15:16], v[15:16], -v[17:18]
	v_fma_f64 v[21:22], v[19:20], v[21:22], s[22:23]
	v_fma_f64 v[21:22], v[19:20], v[21:22], s[24:25]
	;; [unrolled: 1-line block ×6, first 2 shown]
	v_mul_f64 v[23:24], v[19:20], v[21:22]
	v_fma_f64 v[17:18], v[19:20], v[21:22], -v[23:24]
	v_fma_f64 v[17:18], v[15:16], v[21:22], v[17:18]
	v_add_f64 v[21:22], v[23:24], v[17:18]
	v_add_f64 v[25:26], v[21:22], s[10:11]
	v_add_f64 v[23:24], v[21:22], -v[23:24]
	v_add_f64 v[29:30], v[25:26], s[36:37]
	v_add_f64 v[17:18], v[17:18], -v[23:24]
	v_fma_f64 v[23:24], v[19:20], v[13:14], -v[27:28]
	v_add_f64 v[21:22], v[21:22], -v[29:30]
	v_add_f64 v[17:18], v[17:18], s[38:39]
	v_fma_f64 v[19:20], v[19:20], v[11:12], v[23:24]
	v_ldexp_f64 v[11:12], v[11:12], 1
	v_add_f64 v[17:18], v[17:18], v[21:22]
	v_fma_f64 v[15:16], v[15:16], v[13:14], v[19:20]
	v_ldexp_f64 v[13:14], v[13:14], 1
	v_add_f64 v[19:20], v[25:26], v[17:18]
	v_add_f64 v[21:22], v[27:28], v[15:16]
	v_add_f64 v[23:24], v[25:26], -v[19:20]
	v_mul_f64 v[25:26], v[21:22], v[19:20]
	v_add_f64 v[27:28], v[21:22], -v[27:28]
	v_add_f64 v[17:18], v[17:18], v[23:24]
	v_fma_f64 v[23:24], v[21:22], v[19:20], -v[25:26]
	v_add_f64 v[15:16], v[15:16], -v[27:28]
	v_fma_f64 v[17:18], v[21:22], v[17:18], v[23:24]
	v_fma_f64 v[15:16], v[15:16], v[19:20], v[17:18]
	v_frexp_exp_i32_f64_e32 v19, v[8:9]
	v_add_f64 v[17:18], v[25:26], v[15:16]
	v_subrev_co_ci_u32_e64 v19, null, 0, v19, vcc_lo
	v_cmp_eq_f64_e32 vcc_lo, 1.0, v[8:9]
	v_cvt_f64_i32_e32 v[19:20], v19
	v_add_f64 v[21:22], v[13:14], v[17:18]
	v_add_f64 v[23:24], v[17:18], -v[25:26]
	v_mul_f64 v[25:26], v[19:20], s[40:41]
	v_add_f64 v[13:14], v[21:22], -v[13:14]
	v_add_f64 v[15:16], v[15:16], -v[23:24]
	v_fma_f64 v[23:24], v[19:20], s[40:41], -v[25:26]
	v_add_f64 v[13:14], v[17:18], -v[13:14]
	v_add_f64 v[11:12], v[11:12], v[15:16]
	v_fma_f64 v[15:16], v[19:20], s[44:45], v[23:24]
	v_add_f64 v[11:12], v[11:12], v[13:14]
	v_add_f64 v[13:14], v[25:26], v[15:16]
	;; [unrolled: 1-line block ×3, first 2 shown]
	v_add_f64 v[25:26], v[13:14], -v[25:26]
	v_add_f64 v[19:20], v[13:14], v[17:18]
	v_add_f64 v[21:22], v[17:18], -v[21:22]
	v_add_f64 v[15:16], v[15:16], -v[25:26]
	;; [unrolled: 1-line block ×6, first 2 shown]
	v_add_f64 v[21:22], v[15:16], v[11:12]
	v_add_f64 v[13:14], v[13:14], -v[27:28]
	v_add_f64 v[13:14], v[17:18], v[13:14]
	v_add_f64 v[17:18], v[21:22], -v[15:16]
	;; [unrolled: 2-line block ×3, first 2 shown]
	v_add_f64 v[11:12], v[11:12], -v[17:18]
	v_add_f64 v[23:24], v[19:20], v[13:14]
	v_add_f64 v[15:16], v[15:16], -v[21:22]
	v_add_f64 v[17:18], v[23:24], -v[19:20]
	v_add_f64 v[11:12], v[11:12], v[15:16]
	v_cndmask_b32_e32 v16, 0x3fdc71c7, v10, vcc_lo
	v_cndmask_b32_e64 v15, 0x1c71c71d, 0, vcc_lo
	v_add_f64 v[13:14], v[13:14], -v[17:18]
	v_add_f64 v[11:12], v[11:12], v[13:14]
	v_add_f64 v[13:14], v[23:24], v[11:12]
	v_add_f64 v[17:18], v[13:14], -v[23:24]
	v_mul_f64 v[19:20], v[15:16], v[13:14]
	v_add_f64 v[11:12], v[11:12], -v[17:18]
	v_fma_f64 v[13:14], v[15:16], v[13:14], -v[19:20]
	v_cmp_class_f64_e64 vcc_lo, v[19:20], 0x204
	v_fma_f64 v[11:12], v[15:16], v[11:12], v[13:14]
	v_add_f64 v[13:14], v[19:20], v[11:12]
	v_cndmask_b32_e32 v18, v14, v20, vcc_lo
	v_cndmask_b32_e32 v17, v13, v19, vcc_lo
	v_add_co_u32 v27, vcc_lo, s8, v0
	v_add_co_ci_u32_e64 v28, null, s9, v1, vcc_lo
	v_mul_f64 v[21:22], v[17:18], s[42:43]
	v_cmp_gt_f64_e32 vcc_lo, 0x10000000, v[6:7]
	v_add_f64 v[13:14], v[13:14], -v[19:20]
	global_load_dwordx2 v[27:28], v[27:28], off
	v_cmp_neq_f64_e64 s1, 0x7ff00000, |v[17:18]|
	v_cmp_nlt_f64_e64 s2, 0x40900000, v[17:18]
	v_cmp_ngt_f64_e64 s3, 0xc090cc00, v[17:18]
	v_rndne_f64_e32 v[21:22], v[21:22]
	v_cndmask_b32_e64 v29, 0, 0x100, vcc_lo
	v_add_f64 v[11:12], v[11:12], -v[13:14]
	v_ldexp_f64 v[6:7], v[6:7], v29
	v_fma_f64 v[23:24], v[21:22], s[46:47], v[17:18]
	v_cvt_i32_f64_e32 v33, v[21:22]
	v_cndmask_b32_e64 v12, 0, v12, s1
	v_cndmask_b32_e64 v11, 0, v11, s1
	s_and_b32 s1, s3, s2
	v_rsq_f64_e32 v[29:30], v[6:7]
	v_fma_f64 v[23:24], v[21:22], s[48:49], v[23:24]
	v_mul_f64 v[31:32], v[6:7], v[29:30]
	v_mul_f64 v[29:30], v[29:30], 0.5
	v_fma_f64 v[25:26], v[23:24], s[52:53], s[50:51]
	v_fma_f64 v[25:26], v[23:24], v[25:26], s[54:55]
	;; [unrolled: 1-line block ×9, first 2 shown]
	v_fma_f64 v[25:26], v[23:24], v[25:26], 1.0
	v_fma_f64 v[21:22], v[23:24], v[25:26], 1.0
	v_fma_f64 v[23:24], -v[29:30], v[31:32], 0.5
	v_trunc_f64_e32 v[25:26], v[15:16]
	v_ldexp_f64 v[19:20], v[21:22], v33
	v_fma_f64 v[21:22], v[31:32], v[23:24], v[31:32]
	v_fma_f64 v[13:14], v[29:30], v[23:24], v[29:30]
	v_mul_f64 v[23:24], v[15:16], 0.5
	v_cndmask_b32_e64 v20, 0x7ff00000, v20, s2
	v_fma_f64 v[17:18], -v[21:22], v[21:22], v[6:7]
	v_cndmask_b32_e64 v19, 0, v19, s1
	v_cndmask_b32_e64 v20, 0, v20, s3
	v_cmp_eq_f64_e64 s3, v[25:26], v[15:16]
	v_fma_f64 v[11:12], v[19:20], v[11:12], v[19:20]
	v_cmp_class_f64_e64 s2, v[19:20], 0x204
	v_fma_f64 v[17:18], v[17:18], v[13:14], v[21:22]
	v_trunc_f64_e32 v[21:22], v[23:24]
	v_cndmask_b32_e64 v19, v11, v19, s2
	v_cndmask_b32_e64 v11, v12, v20, s2
	v_cmp_gt_f64_e64 s2, 0, v[8:9]
	v_cndmask_b32_e64 v15, 0, v19, s3
	v_fma_f64 v[29:30], -v[17:18], v[17:18], v[6:7]
	v_cmp_neq_f64_e64 s1, v[21:22], v[23:24]
	v_cndmask_b32_e64 v15, v19, v15, s2
	v_fma_f64 v[13:14], v[29:30], v[13:14], v[17:18]
	s_and_b32 s1, s3, s1
	v_cndmask_b32_e64 v12, 0x3ff00000, v9, s1
	v_bfi_b32 v16, 0x7fffffff, v11, v12
	v_cndmask_b32_e64 v11, 0, 0xffffff80, vcc_lo
	v_cmp_class_f64_e64 vcc_lo, v[6:7], 0x260
	v_cndmask_b32_e64 v17, 0x7ff80000, v16, s3
	v_cmp_eq_f64_e64 s3, 0, v[8:9]
	v_cndmask_b32_e64 v16, v16, v17, s2
	v_ldexp_f64 v[11:12], v[13:14], v11
	v_cndmask_b32_e64 v14, 0, v9, s1
	v_cndmask_b32_e64 v13, 0x7ff00000, 0, s3
	s_or_b32 s1, s3, s7
	v_bfi_b32 v14, 0x7fffffff, v13, v14
	v_cndmask_b32_e64 v13, v15, 0, s1
	v_cndmask_b32_e32 v7, v12, v7, vcc_lo
	v_cndmask_b32_e32 v6, v11, v6, vcc_lo
	v_cndmask_b32_e64 v14, v16, v14, s1
	v_cmp_o_f64_e32 vcc_lo, v[8:9], v[8:9]
	s_waitcnt vmcnt(0)
	v_mul_f64 v[6:7], v[27:28], v[6:7]
	v_add_f64 v[11:12], -v[13:14], 1.0
	v_cndmask_b32_e32 v9, 0x7ff80000, v12, vcc_lo
	v_cndmask_b32_e32 v8, 0, v11, vcc_lo
	v_add_co_u32 v11, vcc_lo, s14, v0
	v_add_co_ci_u32_e64 v12, null, s15, v1, vcc_lo
	v_mul_f64 v[6:7], v[6:7], v[8:9]
	v_add_co_u32 v13, vcc_lo, s4, v0
	v_add_co_ci_u32_e64 v14, null, s5, v1, vcc_lo
	v_mul_f64 v[8:9], v[8:9], v[6:7]
	v_mov_b32_e32 v6, 0
	v_mov_b32_e32 v7, 0
	global_store_dwordx2 v[11:12], v[4:5], off
	global_store_dwordx2 v[13:14], v[8:9], off
	s_and_saveexec_b32 s8, s0
	s_cbranch_execz .LBB0_5
; %bb.4:
	s_mov_b32 s0, 0x47ae147b
	s_mov_b32 s1, 0x3f947ae1
	v_mul_f64 v[2:3], |v[2:3]|, s[0:1]
	v_frexp_mant_f64_e32 v[4:5], v[2:3]
	v_cmp_gt_f64_e32 vcc_lo, s[10:11], v[4:5]
	v_cndmask_b32_e64 v6, 0, 1, vcc_lo
	v_ldexp_f64 v[4:5], v[4:5], v6
	v_add_f64 v[6:7], v[4:5], 1.0
	v_add_f64 v[13:14], v[4:5], -1.0
	v_rcp_f64_e32 v[8:9], v[6:7]
	v_add_f64 v[15:16], v[6:7], -1.0
	v_add_f64 v[4:5], v[4:5], -v[15:16]
	v_fma_f64 v[11:12], -v[6:7], v[8:9], 1.0
	v_fma_f64 v[8:9], v[11:12], v[8:9], v[8:9]
	v_fma_f64 v[11:12], -v[6:7], v[8:9], 1.0
	v_fma_f64 v[8:9], v[11:12], v[8:9], v[8:9]
	v_mul_f64 v[11:12], v[13:14], v[8:9]
	v_mul_f64 v[17:18], v[6:7], v[11:12]
	v_fma_f64 v[6:7], v[11:12], v[6:7], -v[17:18]
	v_fma_f64 v[4:5], v[11:12], v[4:5], v[6:7]
	v_add_f64 v[6:7], v[17:18], v[4:5]
	v_add_f64 v[15:16], v[13:14], -v[6:7]
	v_add_f64 v[17:18], v[6:7], -v[17:18]
	;; [unrolled: 1-line block ×5, first 2 shown]
	v_add_f64 v[4:5], v[4:5], v[6:7]
	v_add_f64 v[4:5], v[15:16], v[4:5]
	v_mul_f64 v[4:5], v[8:9], v[4:5]
	v_add_f64 v[6:7], v[11:12], v[4:5]
	v_add_f64 v[8:9], v[6:7], -v[11:12]
	v_mul_f64 v[11:12], v[6:7], v[6:7]
	v_add_f64 v[4:5], v[4:5], -v[8:9]
	v_fma_f64 v[8:9], v[6:7], v[6:7], -v[11:12]
	v_add_f64 v[13:14], v[4:5], v[4:5]
	v_fma_f64 v[8:9], v[6:7], v[13:14], v[8:9]
	v_add_f64 v[13:14], v[11:12], v[8:9]
	v_fma_f64 v[15:16], v[13:14], s[18:19], s[16:17]
	v_add_f64 v[11:12], v[13:14], -v[11:12]
	v_mul_f64 v[21:22], v[6:7], v[13:14]
	v_fma_f64 v[15:16], v[13:14], v[15:16], s[20:21]
	v_add_f64 v[8:9], v[8:9], -v[11:12]
	v_fma_f64 v[15:16], v[13:14], v[15:16], s[22:23]
	v_fma_f64 v[15:16], v[13:14], v[15:16], s[24:25]
	;; [unrolled: 1-line block ×6, first 2 shown]
	v_mul_f64 v[17:18], v[13:14], v[15:16]
	v_fma_f64 v[11:12], v[13:14], v[15:16], -v[17:18]
	v_fma_f64 v[11:12], v[8:9], v[15:16], v[11:12]
	v_add_f64 v[15:16], v[17:18], v[11:12]
	v_add_f64 v[19:20], v[15:16], s[10:11]
	v_add_f64 v[17:18], v[15:16], -v[17:18]
	v_add_f64 v[23:24], v[19:20], s[36:37]
	v_add_f64 v[11:12], v[11:12], -v[17:18]
	v_fma_f64 v[17:18], v[13:14], v[6:7], -v[21:22]
	v_add_f64 v[15:16], v[15:16], -v[23:24]
	v_add_f64 v[11:12], v[11:12], s[38:39]
	v_fma_f64 v[13:14], v[13:14], v[4:5], v[17:18]
	v_ldexp_f64 v[4:5], v[4:5], 1
	v_add_f64 v[11:12], v[11:12], v[15:16]
	v_fma_f64 v[8:9], v[8:9], v[6:7], v[13:14]
	v_ldexp_f64 v[6:7], v[6:7], 1
	v_add_f64 v[13:14], v[19:20], v[11:12]
	v_add_f64 v[15:16], v[21:22], v[8:9]
	v_add_f64 v[17:18], v[19:20], -v[13:14]
	v_mul_f64 v[19:20], v[15:16], v[13:14]
	v_add_f64 v[21:22], v[15:16], -v[21:22]
	v_add_f64 v[11:12], v[11:12], v[17:18]
	v_fma_f64 v[17:18], v[15:16], v[13:14], -v[19:20]
	v_add_f64 v[8:9], v[8:9], -v[21:22]
	v_fma_f64 v[11:12], v[15:16], v[11:12], v[17:18]
	v_fma_f64 v[8:9], v[8:9], v[13:14], v[11:12]
	v_frexp_exp_i32_f64_e32 v13, v[2:3]
	v_add_f64 v[11:12], v[19:20], v[8:9]
	v_subrev_co_ci_u32_e64 v13, null, 0, v13, vcc_lo
	v_cmp_eq_f64_e32 vcc_lo, 1.0, v[2:3]
	v_cvt_f64_i32_e32 v[13:14], v13
	v_add_f64 v[15:16], v[6:7], v[11:12]
	v_add_f64 v[17:18], v[11:12], -v[19:20]
	v_mul_f64 v[19:20], v[13:14], s[40:41]
	v_add_f64 v[6:7], v[15:16], -v[6:7]
	v_add_f64 v[8:9], v[8:9], -v[17:18]
	v_fma_f64 v[17:18], v[13:14], s[40:41], -v[19:20]
	v_add_f64 v[6:7], v[11:12], -v[6:7]
	v_add_f64 v[4:5], v[4:5], v[8:9]
	v_fma_f64 v[8:9], v[13:14], s[44:45], v[17:18]
	v_add_f64 v[4:5], v[4:5], v[6:7]
	v_add_f64 v[6:7], v[19:20], v[8:9]
	;; [unrolled: 1-line block ×3, first 2 shown]
	v_add_f64 v[19:20], v[6:7], -v[19:20]
	v_add_f64 v[13:14], v[6:7], v[11:12]
	v_add_f64 v[15:16], v[11:12], -v[15:16]
	v_add_f64 v[8:9], v[8:9], -v[19:20]
	;; [unrolled: 1-line block ×6, first 2 shown]
	v_add_f64 v[15:16], v[8:9], v[4:5]
	v_add_f64 v[6:7], v[6:7], -v[21:22]
	v_add_f64 v[6:7], v[11:12], v[6:7]
	v_add_f64 v[11:12], v[15:16], -v[8:9]
	;; [unrolled: 2-line block ×3, first 2 shown]
	v_add_f64 v[4:5], v[4:5], -v[11:12]
	v_add_f64 v[17:18], v[13:14], v[6:7]
	v_add_f64 v[8:9], v[8:9], -v[15:16]
	v_add_f64 v[11:12], v[17:18], -v[13:14]
	v_add_f64 v[4:5], v[4:5], v[8:9]
	v_cndmask_b32_e32 v9, 0x3fe99999, v10, vcc_lo
	v_cndmask_b32_e64 v8, 0x9999999a, 0, vcc_lo
	v_add_f64 v[6:7], v[6:7], -v[11:12]
	v_cndmask_b32_e32 v12, 0x3ffccccc, v10, vcc_lo
	v_cndmask_b32_e64 v11, 0xcccccccd, 0, vcc_lo
	v_add_f64 v[4:5], v[4:5], v[6:7]
	v_add_f64 v[6:7], v[17:18], v[4:5]
	v_add_f64 v[13:14], v[6:7], -v[17:18]
	v_mul_f64 v[15:16], v[8:9], v[6:7]
	v_mul_f64 v[17:18], v[11:12], v[6:7]
	v_add_f64 v[4:5], v[4:5], -v[13:14]
	v_fma_f64 v[13:14], v[8:9], v[6:7], -v[15:16]
	v_fma_f64 v[6:7], v[11:12], v[6:7], -v[17:18]
	v_cmp_class_f64_e64 vcc_lo, v[15:16], 0x204
	v_cmp_class_f64_e64 s0, v[17:18], 0x204
	v_fma_f64 v[8:9], v[8:9], v[4:5], v[13:14]
	v_fma_f64 v[4:5], v[11:12], v[4:5], v[6:7]
	v_add_f64 v[6:7], v[15:16], v[8:9]
	v_add_f64 v[11:12], v[17:18], v[4:5]
	v_cndmask_b32_e32 v14, v7, v16, vcc_lo
	v_cndmask_b32_e32 v13, v6, v15, vcc_lo
	v_cndmask_b32_e64 v20, v12, v18, s0
	v_cndmask_b32_e64 v19, v11, v17, s0
	v_add_f64 v[6:7], v[6:7], -v[15:16]
	v_add_f64 v[11:12], v[11:12], -v[17:18]
	v_mul_f64 v[21:22], v[13:14], s[42:43]
	v_cmp_nlt_f64_e64 s1, 0x40900000, v[13:14]
	v_mul_f64 v[23:24], v[19:20], s[42:43]
	v_cmp_nlt_f64_e64 s3, 0x40900000, v[19:20]
	v_cmp_neq_f64_e64 vcc_lo, 0x7ff00000, |v[13:14]|
	v_cmp_ngt_f64_e64 s2, 0xc090cc00, v[13:14]
	v_cmp_neq_f64_e64 s0, 0x7ff00000, |v[19:20]|
	v_cmp_ngt_f64_e64 s4, 0xc090cc00, v[19:20]
	v_add_f64 v[6:7], v[8:9], -v[6:7]
	v_add_f64 v[4:5], v[4:5], -v[11:12]
	v_rndne_f64_e32 v[21:22], v[21:22]
	v_rndne_f64_e32 v[23:24], v[23:24]
	v_cndmask_b32_e32 v7, 0, v7, vcc_lo
	v_cndmask_b32_e32 v6, 0, v6, vcc_lo
	v_fma_f64 v[25:26], v[21:22], s[46:47], v[13:14]
	v_cvt_i32_f64_e32 v33, v[21:22]
	v_fma_f64 v[27:28], v[23:24], s[46:47], v[19:20]
	s_and_b32 vcc_lo, s2, s1
	v_cndmask_b32_e64 v8, 0, v4, s0
	v_cndmask_b32_e64 v9, 0, v5, s0
	v_fma_f64 v[25:26], v[21:22], s[48:49], v[25:26]
	v_fma_f64 v[27:28], v[23:24], s[48:49], v[27:28]
	;; [unrolled: 1-line block ×20, first 2 shown]
	v_fma_f64 v[29:30], v[25:26], v[29:30], 1.0
	v_fma_f64 v[31:32], v[27:28], v[31:32], 1.0
	;; [unrolled: 1-line block ×3, first 2 shown]
	v_cvt_i32_f64_e32 v25, v[23:24]
	v_fma_f64 v[23:24], v[27:28], v[31:32], 1.0
	v_ldexp_f64 v[15:16], v[21:22], v33
	v_ldexp_f64 v[17:18], v[23:24], v25
	v_cndmask_b32_e64 v11, 0x7ff00000, v16, s1
	v_cndmask_b32_e32 v4, 0, v15, vcc_lo
	v_cndmask_b32_e64 v12, 0x7ff00000, v18, s3
	s_and_b32 vcc_lo, s4, s3
	v_cmp_eq_f64_e64 s1, 0x7ff00000, v[2:3]
	v_cndmask_b32_e64 v5, 0, v11, s2
	v_cndmask_b32_e32 v11, 0, v17, vcc_lo
	v_cndmask_b32_e64 v12, 0, v12, s4
	v_cmp_eq_f64_e64 s2, 0, v[2:3]
	v_fma_f64 v[6:7], v[4:5], v[6:7], v[4:5]
	v_cmp_class_f64_e64 vcc_lo, v[4:5], 0x204
	v_fma_f64 v[8:9], v[11:12], v[8:9], v[11:12]
	v_cmp_class_f64_e64 s0, v[11:12], 0x204
	v_cndmask_b32_e32 v2, v7, v5, vcc_lo
	v_cndmask_b32_e64 v5, 0x7ff00000, 0, s2
	v_cndmask_b32_e64 v3, v9, v12, s0
	;; [unrolled: 1-line block ×3, first 2 shown]
	s_or_b32 s0, s2, s1
	v_and_b32_e32 v2, 0x7fffffff, v2
	v_and_b32_e32 v7, 0x7fffffff, v3
	v_cndmask_b32_e64 v3, v2, v5, s0
	v_cndmask_b32_e64 v8, v7, v5, s0
	;; [unrolled: 1-line block ×3, first 2 shown]
	v_add_f64 v[7:8], v[7:8], 1.0
	v_frexp_mant_f64_e64 v[11:12], |v[7:8]|
	v_cmp_eq_f64_e64 s4, 0, v[7:8]
	v_cmp_class_f64_e64 s7, v[7:8], 0x204
	v_cmp_gt_f64_e64 s1, s[10:11], v[11:12]
	v_cndmask_b32_e64 v2, 0, 1, s1
	v_ldexp_f64 v[11:12], v[11:12], v2
	v_frexp_exp_i32_f64_e32 v2, v[7:8]
	v_add_f64 v[13:14], v[11:12], 1.0
	v_add_f64 v[19:20], v[11:12], -1.0
	v_subrev_co_ci_u32_e64 v2, null, 0, v2, s1
	v_cmp_eq_f64_e64 s1, 1.0, v[7:8]
	v_rcp_f64_e32 v[15:16], v[13:14]
	v_add_f64 v[21:22], v[13:14], -1.0
	v_cndmask_b32_e64 v10, 0xbff71c71, v10, s1
	v_cndmask_b32_e64 v9, 0xc71c71c7, 0, s1
	v_cmp_gt_f64_e64 s5, 0, v[9:10]
	v_add_f64 v[11:12], v[11:12], -v[21:22]
	v_fma_f64 v[17:18], -v[13:14], v[15:16], 1.0
	v_fma_f64 v[15:16], v[17:18], v[15:16], v[15:16]
	v_fma_f64 v[17:18], -v[13:14], v[15:16], 1.0
	v_fma_f64 v[15:16], v[17:18], v[15:16], v[15:16]
	v_mul_f64 v[17:18], v[19:20], v[15:16]
	v_mul_f64 v[23:24], v[13:14], v[17:18]
	v_fma_f64 v[13:14], v[17:18], v[13:14], -v[23:24]
	v_fma_f64 v[11:12], v[17:18], v[11:12], v[13:14]
	v_add_f64 v[13:14], v[23:24], v[11:12]
	v_add_f64 v[21:22], v[19:20], -v[13:14]
	v_add_f64 v[23:24], v[13:14], -v[23:24]
	;; [unrolled: 1-line block ×5, first 2 shown]
	v_add_f64 v[11:12], v[11:12], v[13:14]
	v_add_f64 v[11:12], v[21:22], v[11:12]
	v_mul_f64 v[11:12], v[15:16], v[11:12]
	v_add_f64 v[13:14], v[17:18], v[11:12]
	v_add_f64 v[15:16], v[13:14], -v[17:18]
	v_mul_f64 v[17:18], v[13:14], v[13:14]
	v_add_f64 v[11:12], v[11:12], -v[15:16]
	v_fma_f64 v[15:16], v[13:14], v[13:14], -v[17:18]
	v_add_f64 v[19:20], v[11:12], v[11:12]
	v_fma_f64 v[15:16], v[13:14], v[19:20], v[15:16]
	v_add_f64 v[19:20], v[17:18], v[15:16]
	v_fma_f64 v[21:22], v[19:20], s[18:19], s[16:17]
	v_add_f64 v[17:18], v[19:20], -v[17:18]
	v_mul_f64 v[27:28], v[13:14], v[19:20]
	v_fma_f64 v[21:22], v[19:20], v[21:22], s[20:21]
	v_add_f64 v[15:16], v[15:16], -v[17:18]
	v_fma_f64 v[21:22], v[19:20], v[21:22], s[22:23]
	v_fma_f64 v[21:22], v[19:20], v[21:22], s[24:25]
	;; [unrolled: 1-line block ×6, first 2 shown]
	v_mul_f64 v[23:24], v[19:20], v[21:22]
	v_fma_f64 v[17:18], v[19:20], v[21:22], -v[23:24]
	v_fma_f64 v[17:18], v[15:16], v[21:22], v[17:18]
	v_add_f64 v[21:22], v[23:24], v[17:18]
	v_add_f64 v[25:26], v[21:22], s[10:11]
	v_add_f64 v[23:24], v[21:22], -v[23:24]
	s_mov_b32 s10, 0x99999999
	s_mov_b32 s11, 0xbff99999
	v_add_f64 v[29:30], v[25:26], s[36:37]
	v_add_f64 v[17:18], v[17:18], -v[23:24]
	v_fma_f64 v[23:24], v[19:20], v[13:14], -v[27:28]
	v_add_f64 v[21:22], v[21:22], -v[29:30]
	v_add_f64 v[17:18], v[17:18], s[38:39]
	v_fma_f64 v[19:20], v[19:20], v[11:12], v[23:24]
	v_ldexp_f64 v[11:12], v[11:12], 1
	v_add_f64 v[17:18], v[17:18], v[21:22]
	v_fma_f64 v[15:16], v[15:16], v[13:14], v[19:20]
	v_ldexp_f64 v[13:14], v[13:14], 1
	v_add_f64 v[19:20], v[25:26], v[17:18]
	v_add_f64 v[21:22], v[27:28], v[15:16]
	v_add_f64 v[23:24], v[25:26], -v[19:20]
	v_mul_f64 v[25:26], v[21:22], v[19:20]
	v_add_f64 v[27:28], v[21:22], -v[27:28]
	v_add_f64 v[17:18], v[17:18], v[23:24]
	v_fma_f64 v[23:24], v[21:22], v[19:20], -v[25:26]
	v_add_f64 v[15:16], v[15:16], -v[27:28]
	v_fma_f64 v[17:18], v[21:22], v[17:18], v[23:24]
	v_fma_f64 v[15:16], v[15:16], v[19:20], v[17:18]
	v_cvt_f64_i32_e32 v[19:20], v2
	v_add_f64 v[17:18], v[25:26], v[15:16]
	v_add_f64 v[21:22], v[13:14], v[17:18]
	v_add_f64 v[23:24], v[17:18], -v[25:26]
	v_mul_f64 v[25:26], v[19:20], s[40:41]
	v_add_f64 v[13:14], v[21:22], -v[13:14]
	v_add_f64 v[15:16], v[15:16], -v[23:24]
	v_fma_f64 v[23:24], v[19:20], s[40:41], -v[25:26]
	v_add_f64 v[13:14], v[17:18], -v[13:14]
	v_add_f64 v[11:12], v[11:12], v[15:16]
	v_fma_f64 v[15:16], v[19:20], s[44:45], v[23:24]
	v_add_f64 v[11:12], v[11:12], v[13:14]
	v_add_f64 v[13:14], v[25:26], v[15:16]
	;; [unrolled: 1-line block ×3, first 2 shown]
	v_add_f64 v[25:26], v[13:14], -v[25:26]
	v_add_f64 v[19:20], v[13:14], v[17:18]
	v_add_f64 v[21:22], v[17:18], -v[21:22]
	v_add_f64 v[15:16], v[15:16], -v[25:26]
	;; [unrolled: 1-line block ×6, first 2 shown]
	v_add_f64 v[21:22], v[15:16], v[11:12]
	v_add_f64 v[13:14], v[13:14], -v[27:28]
	v_add_f64 v[13:14], v[17:18], v[13:14]
	v_add_f64 v[17:18], v[21:22], -v[15:16]
	;; [unrolled: 2-line block ×3, first 2 shown]
	v_add_f64 v[11:12], v[11:12], -v[17:18]
	v_add_f64 v[23:24], v[19:20], v[13:14]
	v_add_f64 v[15:16], v[15:16], -v[21:22]
	v_add_f64 v[17:18], v[23:24], -v[19:20]
	v_add_f64 v[11:12], v[11:12], v[15:16]
	v_add_f64 v[13:14], v[13:14], -v[17:18]
	v_add_f64 v[11:12], v[11:12], v[13:14]
	v_add_f64 v[13:14], v[23:24], v[11:12]
	v_add_f64 v[15:16], v[13:14], -v[23:24]
	v_mul_f64 v[17:18], v[9:10], v[13:14]
	v_add_f64 v[11:12], v[11:12], -v[15:16]
	v_fma_f64 v[13:14], v[9:10], v[13:14], -v[17:18]
	v_cmp_class_f64_e64 s1, v[17:18], 0x204
	v_fma_f64 v[11:12], v[9:10], v[11:12], v[13:14]
	v_add_f64 v[13:14], v[17:18], v[11:12]
	v_cndmask_b32_e64 v16, v14, v18, s1
	v_cndmask_b32_e64 v15, v13, v17, s1
	v_add_f64 v[13:14], v[13:14], -v[17:18]
	v_mul_f64 v[19:20], v[15:16], s[42:43]
	v_cmp_nlt_f64_e64 s2, 0x40900000, v[15:16]
	v_cmp_neq_f64_e64 s1, 0x7ff00000, |v[15:16]|
	v_cmp_ngt_f64_e64 s3, 0xc090cc00, v[15:16]
	v_add_f64 v[11:12], v[11:12], -v[13:14]
	v_trunc_f64_e32 v[13:14], v[9:10]
	v_rndne_f64_e32 v[19:20], v[19:20]
	v_cndmask_b32_e64 v12, 0, v12, s1
	v_cndmask_b32_e64 v11, 0, v11, s1
	s_and_b32 s1, s3, s2
	v_fma_f64 v[21:22], v[19:20], s[46:47], v[15:16]
	v_cvt_i32_f64_e32 v2, v[19:20]
	v_fma_f64 v[21:22], v[19:20], s[48:49], v[21:22]
	v_fma_f64 v[23:24], v[21:22], s[52:53], s[50:51]
	;; [unrolled: 1-line block ×10, first 2 shown]
	v_fma_f64 v[23:24], v[21:22], v[23:24], 1.0
	v_fma_f64 v[19:20], v[21:22], v[23:24], 1.0
	v_ldexp_f64 v[17:18], v[19:20], v2
	v_mul_f64 v[19:20], v[9:10], 0.5
	v_cndmask_b32_e64 v2, 0x7ff00000, v18, s2
	v_trunc_f64_e32 v[15:16], v[19:20]
	v_cndmask_b32_e64 v17, 0, v17, s1
	v_cmp_eq_f64_e64 s1, v[13:14], v[9:10]
	v_cndmask_b32_e64 v18, 0, v2, s3
	v_cndmask_b32_e32 v2, v6, v4, vcc_lo
	v_fma_f64 v[9:10], v[17:18], v[11:12], v[17:18]
	v_cmp_class_f64_e64 s3, v[17:18], 0x204
	v_cndmask_b32_e64 v2, v2, 0, s0
	s_xor_b32 s0, s4, s5
	v_cndmask_b32_e64 v4, 0x7ff00000, 0, s0
	v_mul_f64 v[2:3], v[2:3], s[10:11]
	v_cmp_neq_f64_e64 s2, v[15:16], v[19:20]
	v_cndmask_b32_e64 v10, v10, v18, s3
	v_cndmask_b32_e64 v9, v9, v17, s3
	s_and_b32 vcc_lo, s1, s2
	v_cndmask_b32_e32 v5, 0x3ff00000, v8, vcc_lo
	v_cndmask_b32_e32 v6, 0, v8, vcc_lo
	s_or_b32 vcc_lo, s4, s7
	s_mov_b32 s7, 0xbfd66666
	v_bfi_b32 v5, 0x7fffffff, v10, v5
	v_bfi_b32 v4, 0x7fffffff, v4, v6
	v_mul_f64 v[2:3], v[2:3], s[6:7]
	v_cndmask_b32_e32 v5, v5, v4, vcc_lo
	v_cndmask_b32_e64 v4, v9, 0, vcc_lo
	v_cmp_o_f64_e32 vcc_lo, v[7:8], v[7:8]
	v_cndmask_b32_e32 v4, 0, v4, vcc_lo
	v_cndmask_b32_e32 v5, 0x7ff80000, v5, vcc_lo
	v_mul_f64 v[6:7], v[2:3], v[4:5]
.LBB0_5:
	s_or_b32 exec_lo, exec_lo, s8
	v_add_co_u32 v0, vcc_lo, s12, v0
	v_add_co_ci_u32_e64 v1, null, s13, v1, vcc_lo
	global_store_dwordx2 v[0:1], v[6:7], off
.LBB0_6:
	s_endpgm
	.section	.rodata,"a",@progbits
	.p2align	6, 0x0
	.amdhsa_kernel _Z12vanGenuchtenPKdS0_PdS1_S1_i
		.amdhsa_group_segment_fixed_size 0
		.amdhsa_private_segment_fixed_size 0
		.amdhsa_kernarg_size 304
		.amdhsa_user_sgpr_count 6
		.amdhsa_user_sgpr_private_segment_buffer 1
		.amdhsa_user_sgpr_dispatch_ptr 0
		.amdhsa_user_sgpr_queue_ptr 0
		.amdhsa_user_sgpr_kernarg_segment_ptr 1
		.amdhsa_user_sgpr_dispatch_id 0
		.amdhsa_user_sgpr_flat_scratch_init 0
		.amdhsa_user_sgpr_private_segment_size 0
		.amdhsa_wavefront_size32 1
		.amdhsa_uses_dynamic_stack 0
		.amdhsa_system_sgpr_private_segment_wavefront_offset 0
		.amdhsa_system_sgpr_workgroup_id_x 1
		.amdhsa_system_sgpr_workgroup_id_y 0
		.amdhsa_system_sgpr_workgroup_id_z 0
		.amdhsa_system_sgpr_workgroup_info 0
		.amdhsa_system_vgpr_workitem_id 0
		.amdhsa_next_free_vgpr 34
		.amdhsa_next_free_sgpr 70
		.amdhsa_reserve_vcc 1
		.amdhsa_reserve_flat_scratch 0
		.amdhsa_float_round_mode_32 0
		.amdhsa_float_round_mode_16_64 0
		.amdhsa_float_denorm_mode_32 3
		.amdhsa_float_denorm_mode_16_64 3
		.amdhsa_dx10_clamp 1
		.amdhsa_ieee_mode 1
		.amdhsa_fp16_overflow 0
		.amdhsa_workgroup_processor_mode 1
		.amdhsa_memory_ordered 1
		.amdhsa_forward_progress 1
		.amdhsa_shared_vgpr_count 0
		.amdhsa_exception_fp_ieee_invalid_op 0
		.amdhsa_exception_fp_denorm_src 0
		.amdhsa_exception_fp_ieee_div_zero 0
		.amdhsa_exception_fp_ieee_overflow 0
		.amdhsa_exception_fp_ieee_underflow 0
		.amdhsa_exception_fp_ieee_inexact 0
		.amdhsa_exception_int_div_zero 0
	.end_amdhsa_kernel
	.text
.Lfunc_end0:
	.size	_Z12vanGenuchtenPKdS0_PdS1_S1_i, .Lfunc_end0-_Z12vanGenuchtenPKdS0_PdS1_S1_i
                                        ; -- End function
	.set _Z12vanGenuchtenPKdS0_PdS1_S1_i.num_vgpr, 34
	.set _Z12vanGenuchtenPKdS0_PdS1_S1_i.num_agpr, 0
	.set _Z12vanGenuchtenPKdS0_PdS1_S1_i.numbered_sgpr, 70
	.set _Z12vanGenuchtenPKdS0_PdS1_S1_i.num_named_barrier, 0
	.set _Z12vanGenuchtenPKdS0_PdS1_S1_i.private_seg_size, 0
	.set _Z12vanGenuchtenPKdS0_PdS1_S1_i.uses_vcc, 1
	.set _Z12vanGenuchtenPKdS0_PdS1_S1_i.uses_flat_scratch, 0
	.set _Z12vanGenuchtenPKdS0_PdS1_S1_i.has_dyn_sized_stack, 0
	.set _Z12vanGenuchtenPKdS0_PdS1_S1_i.has_recursion, 0
	.set _Z12vanGenuchtenPKdS0_PdS1_S1_i.has_indirect_call, 0
	.section	.AMDGPU.csdata,"",@progbits
; Kernel info:
; codeLenInByte = 10008
; TotalNumSgprs: 72
; NumVgprs: 34
; ScratchSize: 0
; MemoryBound: 0
; FloatMode: 240
; IeeeMode: 1
; LDSByteSize: 0 bytes/workgroup (compile time only)
; SGPRBlocks: 0
; VGPRBlocks: 4
; NumSGPRsForWavesPerEU: 72
; NumVGPRsForWavesPerEU: 34
; Occupancy: 16
; WaveLimiterHint : 0
; COMPUTE_PGM_RSRC2:SCRATCH_EN: 0
; COMPUTE_PGM_RSRC2:USER_SGPR: 6
; COMPUTE_PGM_RSRC2:TRAP_HANDLER: 0
; COMPUTE_PGM_RSRC2:TGID_X_EN: 1
; COMPUTE_PGM_RSRC2:TGID_Y_EN: 0
; COMPUTE_PGM_RSRC2:TGID_Z_EN: 0
; COMPUTE_PGM_RSRC2:TIDIG_COMP_CNT: 0
	.text
	.p2alignl 6, 3214868480
	.fill 48, 4, 3214868480
	.section	.AMDGPU.gpr_maximums,"",@progbits
	.set amdgpu.max_num_vgpr, 0
	.set amdgpu.max_num_agpr, 0
	.set amdgpu.max_num_sgpr, 0
	.text
	.type	__hip_cuid_f2fe8d6c0d75f095,@object ; @__hip_cuid_f2fe8d6c0d75f095
	.section	.bss,"aw",@nobits
	.globl	__hip_cuid_f2fe8d6c0d75f095
__hip_cuid_f2fe8d6c0d75f095:
	.byte	0                               ; 0x0
	.size	__hip_cuid_f2fe8d6c0d75f095, 1

	.ident	"AMD clang version 22.0.0git (https://github.com/RadeonOpenCompute/llvm-project roc-7.2.4 26084 f58b06dce1f9c15707c5f808fd002e18c2accf7e)"
	.section	".note.GNU-stack","",@progbits
	.addrsig
	.addrsig_sym __hip_cuid_f2fe8d6c0d75f095
	.amdgpu_metadata
---
amdhsa.kernels:
  - .args:
      - .actual_access:  read_only
        .address_space:  global
        .offset:         0
        .size:           8
        .value_kind:     global_buffer
      - .actual_access:  read_only
        .address_space:  global
        .offset:         8
        .size:           8
        .value_kind:     global_buffer
      - .actual_access:  write_only
        .address_space:  global
        .offset:         16
        .size:           8
        .value_kind:     global_buffer
      - .actual_access:  write_only
        .address_space:  global
        .offset:         24
        .size:           8
        .value_kind:     global_buffer
      - .actual_access:  write_only
        .address_space:  global
        .offset:         32
        .size:           8
        .value_kind:     global_buffer
      - .offset:         40
        .size:           4
        .value_kind:     by_value
      - .offset:         48
        .size:           4
        .value_kind:     hidden_block_count_x
      - .offset:         52
        .size:           4
        .value_kind:     hidden_block_count_y
      - .offset:         56
        .size:           4
        .value_kind:     hidden_block_count_z
      - .offset:         60
        .size:           2
        .value_kind:     hidden_group_size_x
      - .offset:         62
        .size:           2
        .value_kind:     hidden_group_size_y
      - .offset:         64
        .size:           2
        .value_kind:     hidden_group_size_z
      - .offset:         66
        .size:           2
        .value_kind:     hidden_remainder_x
      - .offset:         68
        .size:           2
        .value_kind:     hidden_remainder_y
      - .offset:         70
        .size:           2
        .value_kind:     hidden_remainder_z
      - .offset:         88
        .size:           8
        .value_kind:     hidden_global_offset_x
      - .offset:         96
        .size:           8
        .value_kind:     hidden_global_offset_y
      - .offset:         104
        .size:           8
        .value_kind:     hidden_global_offset_z
      - .offset:         112
        .size:           2
        .value_kind:     hidden_grid_dims
    .group_segment_fixed_size: 0
    .kernarg_segment_align: 8
    .kernarg_segment_size: 304
    .language:       OpenCL C
    .language_version:
      - 2
      - 0
    .max_flat_workgroup_size: 1024
    .name:           _Z12vanGenuchtenPKdS0_PdS1_S1_i
    .private_segment_fixed_size: 0
    .sgpr_count:     72
    .sgpr_spill_count: 0
    .symbol:         _Z12vanGenuchtenPKdS0_PdS1_S1_i.kd
    .uniform_work_group_size: 1
    .uses_dynamic_stack: false
    .vgpr_count:     34
    .vgpr_spill_count: 0
    .wavefront_size: 32
    .workgroup_processor_mode: 1
amdhsa.target:   amdgcn-amd-amdhsa--gfx1030
amdhsa.version:
  - 1
  - 2
...

	.end_amdgpu_metadata
